;; amdgpu-corpus repo=ROCm/rocFFT kind=compiled arch=gfx1030 opt=O3
	.text
	.amdgcn_target "amdgcn-amd-amdhsa--gfx1030"
	.amdhsa_code_object_version 6
	.protected	fft_rtc_fwd_len3072_factors_6_4_4_4_4_2_wgs_256_tpt_256_halfLds_sp_op_CI_CI_unitstride_sbrr_C2R_dirReg ; -- Begin function fft_rtc_fwd_len3072_factors_6_4_4_4_4_2_wgs_256_tpt_256_halfLds_sp_op_CI_CI_unitstride_sbrr_C2R_dirReg
	.globl	fft_rtc_fwd_len3072_factors_6_4_4_4_4_2_wgs_256_tpt_256_halfLds_sp_op_CI_CI_unitstride_sbrr_C2R_dirReg
	.p2align	8
	.type	fft_rtc_fwd_len3072_factors_6_4_4_4_4_2_wgs_256_tpt_256_halfLds_sp_op_CI_CI_unitstride_sbrr_C2R_dirReg,@function
fft_rtc_fwd_len3072_factors_6_4_4_4_4_2_wgs_256_tpt_256_halfLds_sp_op_CI_CI_unitstride_sbrr_C2R_dirReg: ; @fft_rtc_fwd_len3072_factors_6_4_4_4_4_2_wgs_256_tpt_256_halfLds_sp_op_CI_CI_unitstride_sbrr_C2R_dirReg
; %bb.0:
	s_clause 0x2
	s_load_dwordx4 s[12:15], s[4:5], 0x0
	s_load_dwordx4 s[8:11], s[4:5], 0x58
	;; [unrolled: 1-line block ×3, first 2 shown]
	v_mov_b32_e32 v9, 0
	v_mov_b32_e32 v7, 0
	v_mov_b32_e32 v11, s6
	v_mov_b32_e32 v8, 0
	v_mov_b32_e32 v12, v9
	s_waitcnt lgkmcnt(0)
	v_cmp_lt_u64_e64 s0, s[14:15], 2
	s_and_b32 vcc_lo, exec_lo, s0
	s_cbranch_vccnz .LBB0_8
; %bb.1:
	s_load_dwordx2 s[0:1], s[4:5], 0x10
	v_mov_b32_e32 v7, 0
	v_mov_b32_e32 v8, 0
	s_add_u32 s2, s18, 8
	s_addc_u32 s3, s19, 0
	v_mov_b32_e32 v2, v7
	s_add_u32 s6, s16, 8
	v_mov_b32_e32 v3, v8
	s_addc_u32 s7, s17, 0
	s_mov_b64 s[22:23], 1
	s_waitcnt lgkmcnt(0)
	s_add_u32 s20, s0, 8
	s_addc_u32 s21, s1, 0
.LBB0_2:                                ; =>This Inner Loop Header: Depth=1
	s_load_dwordx2 s[24:25], s[20:21], 0x0
                                        ; implicit-def: $vgpr4_vgpr5
	s_mov_b32 s0, exec_lo
	s_waitcnt lgkmcnt(0)
	v_or_b32_e32 v10, s25, v12
	v_cmpx_ne_u64_e32 0, v[9:10]
	s_xor_b32 s1, exec_lo, s0
	s_cbranch_execz .LBB0_4
; %bb.3:                                ;   in Loop: Header=BB0_2 Depth=1
	v_cvt_f32_u32_e32 v1, s24
	v_cvt_f32_u32_e32 v4, s25
	s_sub_u32 s0, 0, s24
	s_subb_u32 s26, 0, s25
	v_fmac_f32_e32 v1, 0x4f800000, v4
	v_rcp_f32_e32 v1, v1
	v_mul_f32_e32 v1, 0x5f7ffffc, v1
	v_mul_f32_e32 v4, 0x2f800000, v1
	v_trunc_f32_e32 v4, v4
	v_fmac_f32_e32 v1, 0xcf800000, v4
	v_cvt_u32_f32_e32 v4, v4
	v_cvt_u32_f32_e32 v1, v1
	v_mul_lo_u32 v5, s0, v4
	v_mul_hi_u32 v6, s0, v1
	v_mul_lo_u32 v10, s26, v1
	v_add_nc_u32_e32 v5, v6, v5
	v_mul_lo_u32 v6, s0, v1
	v_add_nc_u32_e32 v5, v5, v10
	v_mul_hi_u32 v10, v1, v6
	v_mul_lo_u32 v13, v1, v5
	v_mul_hi_u32 v14, v1, v5
	v_mul_hi_u32 v15, v4, v6
	v_mul_lo_u32 v6, v4, v6
	v_mul_hi_u32 v16, v4, v5
	v_mul_lo_u32 v5, v4, v5
	v_add_co_u32 v10, vcc_lo, v10, v13
	v_add_co_ci_u32_e32 v13, vcc_lo, 0, v14, vcc_lo
	v_add_co_u32 v6, vcc_lo, v10, v6
	v_add_co_ci_u32_e32 v6, vcc_lo, v13, v15, vcc_lo
	v_add_co_ci_u32_e32 v10, vcc_lo, 0, v16, vcc_lo
	v_add_co_u32 v5, vcc_lo, v6, v5
	v_add_co_ci_u32_e32 v6, vcc_lo, 0, v10, vcc_lo
	v_add_co_u32 v1, vcc_lo, v1, v5
	v_add_co_ci_u32_e32 v4, vcc_lo, v4, v6, vcc_lo
	v_mul_hi_u32 v5, s0, v1
	v_mul_lo_u32 v10, s26, v1
	v_mul_lo_u32 v6, s0, v4
	v_add_nc_u32_e32 v5, v5, v6
	v_mul_lo_u32 v6, s0, v1
	v_add_nc_u32_e32 v5, v5, v10
	v_mul_hi_u32 v10, v1, v6
	v_mul_lo_u32 v13, v1, v5
	v_mul_hi_u32 v14, v1, v5
	v_mul_hi_u32 v15, v4, v6
	v_mul_lo_u32 v6, v4, v6
	v_mul_hi_u32 v16, v4, v5
	v_mul_lo_u32 v5, v4, v5
	v_add_co_u32 v10, vcc_lo, v10, v13
	v_add_co_ci_u32_e32 v13, vcc_lo, 0, v14, vcc_lo
	v_add_co_u32 v6, vcc_lo, v10, v6
	v_add_co_ci_u32_e32 v6, vcc_lo, v13, v15, vcc_lo
	v_add_co_ci_u32_e32 v10, vcc_lo, 0, v16, vcc_lo
	v_add_co_u32 v5, vcc_lo, v6, v5
	v_add_co_ci_u32_e32 v6, vcc_lo, 0, v10, vcc_lo
	v_add_co_u32 v1, vcc_lo, v1, v5
	v_add_co_ci_u32_e32 v6, vcc_lo, v4, v6, vcc_lo
	v_mul_hi_u32 v10, v11, v1
	v_mad_u64_u32 v[13:14], null, v12, v1, 0
	v_mad_u64_u32 v[4:5], null, v11, v6, 0
	;; [unrolled: 1-line block ×3, first 2 shown]
	v_add_co_u32 v1, vcc_lo, v10, v4
	v_add_co_ci_u32_e32 v4, vcc_lo, 0, v5, vcc_lo
	v_add_co_u32 v1, vcc_lo, v1, v13
	v_add_co_ci_u32_e32 v1, vcc_lo, v4, v14, vcc_lo
	v_add_co_ci_u32_e32 v4, vcc_lo, 0, v16, vcc_lo
	v_add_co_u32 v1, vcc_lo, v1, v15
	v_add_co_ci_u32_e32 v6, vcc_lo, 0, v4, vcc_lo
	v_mul_lo_u32 v10, s25, v1
	v_mad_u64_u32 v[4:5], null, s24, v1, 0
	v_mul_lo_u32 v13, s24, v6
	v_sub_co_u32 v4, vcc_lo, v11, v4
	v_add3_u32 v5, v5, v13, v10
	v_sub_nc_u32_e32 v10, v12, v5
	v_subrev_co_ci_u32_e64 v10, s0, s25, v10, vcc_lo
	v_add_co_u32 v13, s0, v1, 2
	v_add_co_ci_u32_e64 v14, s0, 0, v6, s0
	v_sub_co_u32 v15, s0, v4, s24
	v_sub_co_ci_u32_e32 v5, vcc_lo, v12, v5, vcc_lo
	v_subrev_co_ci_u32_e64 v10, s0, 0, v10, s0
	v_cmp_le_u32_e32 vcc_lo, s24, v15
	v_cmp_eq_u32_e64 s0, s25, v5
	v_cndmask_b32_e64 v15, 0, -1, vcc_lo
	v_cmp_le_u32_e32 vcc_lo, s25, v10
	v_cndmask_b32_e64 v16, 0, -1, vcc_lo
	v_cmp_le_u32_e32 vcc_lo, s24, v4
	;; [unrolled: 2-line block ×3, first 2 shown]
	v_cndmask_b32_e64 v17, 0, -1, vcc_lo
	v_cmp_eq_u32_e32 vcc_lo, s25, v10
	v_cndmask_b32_e64 v4, v17, v4, s0
	v_cndmask_b32_e32 v10, v16, v15, vcc_lo
	v_add_co_u32 v15, vcc_lo, v1, 1
	v_add_co_ci_u32_e32 v16, vcc_lo, 0, v6, vcc_lo
	v_cmp_ne_u32_e32 vcc_lo, 0, v10
	v_cndmask_b32_e32 v5, v16, v14, vcc_lo
	v_cndmask_b32_e32 v10, v15, v13, vcc_lo
	v_cmp_ne_u32_e32 vcc_lo, 0, v4
	v_cndmask_b32_e32 v5, v6, v5, vcc_lo
	v_cndmask_b32_e32 v4, v1, v10, vcc_lo
.LBB0_4:                                ;   in Loop: Header=BB0_2 Depth=1
	s_andn2_saveexec_b32 s0, s1
	s_cbranch_execz .LBB0_6
; %bb.5:                                ;   in Loop: Header=BB0_2 Depth=1
	v_cvt_f32_u32_e32 v1, s24
	s_sub_i32 s1, 0, s24
	v_rcp_iflag_f32_e32 v1, v1
	v_mul_f32_e32 v1, 0x4f7ffffe, v1
	v_cvt_u32_f32_e32 v1, v1
	v_mul_lo_u32 v4, s1, v1
	v_mul_hi_u32 v4, v1, v4
	v_add_nc_u32_e32 v1, v1, v4
	v_mul_hi_u32 v1, v11, v1
	v_mul_lo_u32 v4, v1, s24
	v_add_nc_u32_e32 v5, 1, v1
	v_sub_nc_u32_e32 v4, v11, v4
	v_subrev_nc_u32_e32 v6, s24, v4
	v_cmp_le_u32_e32 vcc_lo, s24, v4
	v_cndmask_b32_e32 v4, v4, v6, vcc_lo
	v_cndmask_b32_e32 v1, v1, v5, vcc_lo
	v_cmp_le_u32_e32 vcc_lo, s24, v4
	v_add_nc_u32_e32 v5, 1, v1
	v_cndmask_b32_e32 v4, v1, v5, vcc_lo
	v_mov_b32_e32 v5, v9
.LBB0_6:                                ;   in Loop: Header=BB0_2 Depth=1
	s_or_b32 exec_lo, exec_lo, s0
	v_mul_lo_u32 v1, v5, s24
	v_mul_lo_u32 v6, v4, s25
	s_load_dwordx2 s[0:1], s[6:7], 0x0
	v_mad_u64_u32 v[13:14], null, v4, s24, 0
	s_load_dwordx2 s[24:25], s[2:3], 0x0
	s_add_u32 s22, s22, 1
	s_addc_u32 s23, s23, 0
	s_add_u32 s2, s2, 8
	s_addc_u32 s3, s3, 0
	s_add_u32 s6, s6, 8
	v_add3_u32 v1, v14, v6, v1
	v_sub_co_u32 v6, vcc_lo, v11, v13
	s_addc_u32 s7, s7, 0
	s_add_u32 s20, s20, 8
	v_sub_co_ci_u32_e32 v1, vcc_lo, v12, v1, vcc_lo
	s_addc_u32 s21, s21, 0
	s_waitcnt lgkmcnt(0)
	v_mul_lo_u32 v10, s0, v1
	v_mul_lo_u32 v11, s1, v6
	v_mad_u64_u32 v[7:8], null, s0, v6, v[7:8]
	v_mul_lo_u32 v1, s24, v1
	v_mul_lo_u32 v12, s25, v6
	v_mad_u64_u32 v[2:3], null, s24, v6, v[2:3]
	v_cmp_ge_u64_e64 s0, s[22:23], s[14:15]
	v_add3_u32 v8, v11, v8, v10
	v_add3_u32 v3, v12, v3, v1
	s_and_b32 vcc_lo, exec_lo, s0
	s_cbranch_vccnz .LBB0_9
; %bb.7:                                ;   in Loop: Header=BB0_2 Depth=1
	v_mov_b32_e32 v12, v5
	v_mov_b32_e32 v11, v4
	s_branch .LBB0_2
.LBB0_8:
	v_mov_b32_e32 v2, v7
	v_mov_b32_e32 v4, v11
	;; [unrolled: 1-line block ×4, first 2 shown]
.LBB0_9:
	s_load_dwordx2 s[0:1], s[4:5], 0x28
	s_lshl_b64 s[4:5], s[14:15], 3
                                        ; implicit-def: $vgpr6
                                        ; implicit-def: $vgpr9_vgpr10
	s_add_u32 s2, s18, s4
	s_addc_u32 s3, s19, s5
	s_waitcnt lgkmcnt(0)
	v_cmp_gt_u64_e32 vcc_lo, s[0:1], v[4:5]
	v_cmp_le_u64_e64 s0, s[0:1], v[4:5]
	s_and_saveexec_b32 s1, s0
	s_xor_b32 s0, exec_lo, s1
; %bb.10:
	v_mov_b32_e32 v1, 0
	v_mov_b32_e32 v6, v0
                                        ; implicit-def: $vgpr7_vgpr8
	v_mov_b32_e32 v10, v1
	v_mov_b32_e32 v9, v0
; %bb.11:
	s_or_saveexec_b32 s1, s0
	s_load_dwordx2 s[2:3], s[2:3], 0x0
	s_xor_b32 exec_lo, exec_lo, s1
	s_cbranch_execz .LBB0_15
; %bb.12:
	s_add_u32 s4, s16, s4
	s_addc_u32 s5, s17, s5
	v_lshlrev_b32_e32 v36, 3, v0
	s_load_dwordx2 s[4:5], s[4:5], 0x0
	v_or_b32_e32 v37, 0x1800, v36
	v_or_b32_e32 v14, 0x2000, v36
	;; [unrolled: 1-line block ×5, first 2 shown]
	s_waitcnt lgkmcnt(0)
	v_mul_lo_u32 v1, s5, v4
	v_mul_lo_u32 v6, s4, v5
	v_mad_u64_u32 v[9:10], null, s4, v4, 0
	s_mov_b32 s4, exec_lo
	v_add3_u32 v10, v10, v6, v1
	v_lshlrev_b64 v[6:7], 3, v[7:8]
	v_or_b32_e32 v1, 0x800, v36
	v_lshlrev_b64 v[8:9], 3, v[9:10]
	v_or_b32_e32 v10, 0x1000, v36
	v_add_co_u32 v8, s0, s8, v8
	v_add_co_ci_u32_e64 v9, s0, s9, v9, s0
	v_add_co_u32 v32, s0, v8, v6
	v_add_co_ci_u32_e64 v33, s0, v9, v7, s0
	;; [unrolled: 2-line block ×8, first 2 shown]
	v_add_co_u32 v18, s0, v32, v18
	v_or_b32_e32 v1, 0x4000, v36
	v_add_co_ci_u32_e64 v19, s0, 0, v33, s0
	s_clause 0x6
	global_load_dwordx2 v[20:21], v[6:7], off
	global_load_dwordx2 v[22:23], v[8:9], off
	;; [unrolled: 1-line block ×7, first 2 shown]
	v_add_co_u32 v9, s0, v32, v38
	v_or_b32_e32 v6, 0x4800, v36
	v_add_co_ci_u32_e64 v10, s0, 0, v33, s0
	v_add_co_u32 v26, s0, v32, v1
	v_or_b32_e32 v1, 0x5000, v36
	v_add_co_ci_u32_e64 v27, s0, 0, v33, s0
	;; [unrolled: 3-line block ×3, first 2 shown]
	v_add_co_u32 v30, s0, v32, v1
	v_add_co_ci_u32_e64 v31, s0, 0, v33, s0
	v_add_co_u32 v7, s0, v32, v19
	v_add_co_ci_u32_e64 v8, s0, 0, v33, s0
	s_clause 0x4
	global_load_dwordx2 v[32:33], v[9:10], off
	global_load_dwordx2 v[26:27], v[26:27], off
	;; [unrolled: 1-line block ×5, first 2 shown]
	v_mov_b32_e32 v1, 0
	v_mov_b32_e32 v6, v0
	v_add_nc_u32_e32 v36, 0, v36
	v_add_nc_u32_e32 v37, 0, v37
	;; [unrolled: 1-line block ×3, first 2 shown]
	v_mov_b32_e32 v10, v1
	v_mov_b32_e32 v9, v0
	v_add_nc_u32_e32 v1, 0, v19
	s_waitcnt vmcnt(10)
	ds_write2st64_b64 v36, v[20:21], v[22:23] offset1:4
	s_waitcnt vmcnt(8)
	ds_write_b64 v37, v[11:12]
	s_waitcnt vmcnt(7)
	ds_write2st64_b64 v36, v[24:25], v[13:14] offset0:8 offset1:16
	s_waitcnt vmcnt(5)
	ds_write2st64_b64 v36, v[15:16], v[17:18] offset0:20 offset1:24
	s_waitcnt vmcnt(4)
	ds_write_b64 v38, v[32:33]
	s_waitcnt vmcnt(2)
	ds_write2st64_b64 v36, v[26:27], v[28:29] offset0:32 offset1:36
	s_waitcnt vmcnt(1)
	ds_write_b64 v36, v[30:31] offset:20480
	s_waitcnt vmcnt(0)
	ds_write_b64 v1, v[34:35]
	v_cmpx_eq_u32_e32 0xff, v0
	s_cbranch_execz .LBB0_14
; %bb.13:
	global_load_dwordx2 v[7:8], v[7:8], off offset:8
	v_mov_b32_e32 v9, 0xff
	v_mov_b32_e32 v10, 0
	;; [unrolled: 1-line block ×3, first 2 shown]
	s_waitcnt vmcnt(0)
	ds_write_b64 v1, v[7:8] offset:8
.LBB0_14:
	s_or_b32 exec_lo, exec_lo, s4
.LBB0_15:
	s_or_b32 exec_lo, exec_lo, s1
	v_lshlrev_b32_e32 v7, 3, v6
	s_waitcnt lgkmcnt(0)
	s_barrier
	buffer_gl0_inv
	v_lshlrev_b64 v[10:11], 3, v[9:10]
	v_add_nc_u32_e32 v1, 0, v7
	v_sub_nc_u32_e32 v24, 0, v7
	s_add_u32 s4, s12, 0x5fd0
	s_addc_u32 s5, s13, 0
	s_mov_b32 s1, exec_lo
	ds_read_b32 v7, v1
	ds_read_b32 v8, v24 offset:24576
	s_waitcnt lgkmcnt(0)
	v_add_f32_e32 v22, v8, v7
	v_sub_f32_e32 v23, v7, v8
	v_cmpx_ne_u32_e32 0, v6
	s_xor_b32 s1, exec_lo, s1
	s_cbranch_execz .LBB0_17
; %bb.16:
	v_add_co_u32 v12, s0, s4, v10
	v_add_co_ci_u32_e64 v13, s0, s5, v11, s0
	v_add_f32_e32 v15, v8, v7
	v_sub_f32_e32 v16, v7, v8
	global_load_dwordx2 v[12:13], v[12:13], off
	ds_read_b32 v9, v24 offset:24580
	ds_read_b32 v14, v1 offset:4
	s_waitcnt lgkmcnt(0)
	v_add_f32_e32 v17, v9, v14
	v_sub_f32_e32 v9, v14, v9
	s_waitcnt vmcnt(0)
	v_fma_f32 v7, -v16, v13, v15
	v_fma_f32 v8, v17, v13, -v9
	v_fma_f32 v14, v16, v13, v15
	v_fma_f32 v23, v17, v13, v9
	v_fmac_f32_e32 v7, v12, v17
	v_fmac_f32_e32 v8, v16, v12
	v_fma_f32 v22, -v12, v17, v14
	v_fmac_f32_e32 v23, v16, v12
	ds_write_b64 v24, v[7:8] offset:24576
.LBB0_17:
	s_andn2_saveexec_b32 s0, s1
	s_cbranch_execz .LBB0_19
; %bb.18:
	v_mov_b32_e32 v9, 0
	ds_read_b64 v[7:8], v9 offset:12288
	s_waitcnt lgkmcnt(0)
	v_add_f32_e32 v7, v7, v7
	v_mul_f32_e32 v8, -2.0, v8
	ds_write_b64 v9, v[7:8] offset:12288
.LBB0_19:
	s_or_b32 exec_lo, exec_lo, s0
	v_or_b32_e32 v8, 0x100, v6
	v_mov_b32_e32 v9, 0
	v_or_b32_e32 v20, 0x200, v6
	ds_write_b64 v1, v[22:23]
	v_mad_u32_u24 v59, v6, 40, v1
	v_lshlrev_b64 v[12:13], 3, v[8:9]
	v_mov_b32_e32 v21, v9
	v_add_co_u32 v14, s0, s4, v12
	v_add_co_ci_u32_e64 v15, s0, s5, v13, s0
	global_load_dwordx2 v[25:26], v[14:15], off
	v_lshlrev_b64 v[14:15], 3, v[20:21]
	v_lshl_or_b32 v21, v0, 3, 0x1800
	v_add_co_u32 v16, s0, s4, v14
	v_add_co_ci_u32_e64 v17, s0, s5, v15, s0
	s_clause 0x1
	global_load_dwordx2 v[29:30], v21, s[4:5]
	global_load_dwordx2 v[27:28], v[16:17], off
	v_or_b32_e32 v16, 0x400, v6
	v_mov_b32_e32 v17, v9
	v_lshlrev_b64 v[16:17], 3, v[16:17]
	v_add_co_u32 v18, s0, s4, v16
	v_add_co_ci_u32_e64 v19, s0, s5, v17, s0
	global_load_dwordx2 v[31:32], v[18:19], off
	v_or_b32_e32 v18, 0x500, v6
	v_mov_b32_e32 v19, v9
	v_lshlrev_b64 v[18:19], 3, v[18:19]
	v_add_co_u32 v33, s0, s4, v18
	v_add_co_ci_u32_e64 v34, s0, s5, v19, s0
	v_cmp_gt_u32_e64 s0, 0x180, v8
	global_load_dwordx2 v[33:34], v[33:34], off
	ds_read_b64 v[22:23], v1 offset:2048
	ds_read_b64 v[35:36], v24 offset:22528
	s_waitcnt lgkmcnt(0)
	v_add_f32_e32 v7, v22, v35
	v_add_f32_e32 v37, v36, v23
	v_sub_f32_e32 v38, v22, v35
	v_sub_f32_e32 v22, v23, v36
	s_waitcnt vmcnt(4)
	v_fma_f32 v39, v38, v26, v7
	v_fma_f32 v23, v37, v26, v22
	v_fma_f32 v35, -v38, v26, v7
	v_fma_f32 v36, v37, v26, -v22
	v_fma_f32 v22, -v25, v37, v39
	v_fmac_f32_e32 v23, v38, v25
	v_fmac_f32_e32 v35, v25, v37
	;; [unrolled: 1-line block ×3, first 2 shown]
	ds_write_b64 v1, v[22:23] offset:2048
	ds_write_b64 v24, v[35:36] offset:22528
	ds_read_b64 v[22:23], v1 offset:4096
	ds_read_b64 v[25:26], v24 offset:20480
	s_waitcnt lgkmcnt(0)
	v_add_f32_e32 v7, v22, v25
	v_add_f32_e32 v35, v26, v23
	v_sub_f32_e32 v36, v22, v25
	v_sub_f32_e32 v22, v23, v26
	s_waitcnt vmcnt(2)
	v_fma_f32 v37, v36, v28, v7
	v_fma_f32 v23, v35, v28, v22
	v_fma_f32 v25, -v36, v28, v7
	v_fma_f32 v26, v35, v28, -v22
	v_add_nc_u32_e32 v7, 0, v21
	v_fma_f32 v22, -v27, v35, v37
	v_fmac_f32_e32 v23, v36, v27
	v_fmac_f32_e32 v25, v27, v35
	;; [unrolled: 1-line block ×3, first 2 shown]
	ds_write_b64 v1, v[22:23] offset:4096
	ds_write_b64 v24, v[25:26] offset:20480
	ds_read_b64 v[22:23], v7
	ds_read_b64 v[25:26], v24 offset:18432
	s_waitcnt lgkmcnt(0)
	v_add_f32_e32 v27, v22, v25
	v_add_f32_e32 v28, v26, v23
	v_sub_f32_e32 v35, v22, v25
	v_sub_f32_e32 v22, v23, v26
	v_fma_f32 v36, v35, v30, v27
	v_fma_f32 v23, v28, v30, v22
	v_fma_f32 v25, -v35, v30, v27
	v_fma_f32 v26, v28, v30, -v22
	v_fma_f32 v22, -v29, v28, v36
	v_fmac_f32_e32 v23, v35, v29
	v_fmac_f32_e32 v25, v29, v28
	;; [unrolled: 1-line block ×3, first 2 shown]
	ds_write_b64 v7, v[22:23]
	ds_write_b64 v24, v[25:26] offset:18432
	ds_read_b64 v[22:23], v1 offset:8192
	ds_read_b64 v[25:26], v24 offset:16384
	s_waitcnt lgkmcnt(0)
	v_add_f32_e32 v27, v22, v25
	v_add_f32_e32 v28, v26, v23
	v_sub_f32_e32 v29, v22, v25
	v_sub_f32_e32 v22, v23, v26
	s_waitcnt vmcnt(1)
	v_fma_f32 v30, v29, v32, v27
	v_fma_f32 v23, v28, v32, v22
	v_fma_f32 v25, -v29, v32, v27
	v_fma_f32 v26, v28, v32, -v22
	v_fma_f32 v22, -v31, v28, v30
	v_fmac_f32_e32 v23, v29, v31
	v_fmac_f32_e32 v25, v31, v28
	;; [unrolled: 1-line block ×3, first 2 shown]
	ds_write_b64 v1, v[22:23] offset:8192
	ds_write_b64 v24, v[25:26] offset:16384
	ds_read_b64 v[22:23], v1 offset:10240
	ds_read_b64 v[25:26], v24 offset:14336
	s_waitcnt lgkmcnt(0)
	v_add_f32_e32 v27, v22, v25
	v_add_f32_e32 v28, v26, v23
	v_sub_f32_e32 v29, v22, v25
	v_sub_f32_e32 v22, v23, v26
	s_waitcnt vmcnt(0)
	v_fma_f32 v30, v29, v34, v27
	v_fma_f32 v23, v28, v34, v22
	v_fma_f32 v25, -v29, v34, v27
	v_fma_f32 v26, v28, v34, -v22
	v_fma_f32 v22, -v33, v28, v30
	v_fmac_f32_e32 v23, v29, v33
	v_fmac_f32_e32 v25, v33, v28
	;; [unrolled: 1-line block ×3, first 2 shown]
	ds_write_b64 v1, v[22:23] offset:10240
	ds_write_b64 v24, v[25:26] offset:14336
	s_waitcnt lgkmcnt(0)
	s_barrier
	buffer_gl0_inv
	s_barrier
	buffer_gl0_inv
	ds_read2st64_b64 v[25:28], v1 offset1:4
	ds_read2st64_b64 v[29:32], v1 offset0:16 offset1:20
	ds_read2st64_b64 v[33:36], v1 offset0:32 offset1:36
	;; [unrolled: 1-line block ×5, first 2 shown]
	s_waitcnt lgkmcnt(0)
	s_barrier
	buffer_gl0_inv
	v_add_f32_e32 v22, v25, v29
	v_add_f32_e32 v49, v29, v33
	v_sub_f32_e32 v29, v29, v33
	v_add_f32_e32 v54, v27, v31
	v_add_f32_e32 v57, v28, v32
	;; [unrolled: 1-line block ×5, first 2 shown]
	v_sub_f32_e32 v56, v32, v36
	v_add_f32_e32 v32, v32, v36
	v_sub_f32_e32 v31, v31, v35
	v_add_f32_e32 v58, v39, v43
	v_add_f32_e32 v35, v54, v35
	;; [unrolled: 1-line block ×3, first 2 shown]
	v_sub_f32_e32 v54, v44, v48
	v_add_f32_e32 v57, v40, v44
	v_add_f32_e32 v44, v44, v48
	v_fma_f32 v39, -0.5, v22, v39
	v_add_f32_e32 v23, v26, v30
	v_add_f32_e32 v24, v37, v41
	;; [unrolled: 1-line block ×3, first 2 shown]
	v_sub_f32_e32 v43, v43, v47
	v_fmac_f32_e32 v40, -0.5, v44
	v_fmamk_f32 v60, v54, 0x3f5db3d7, v39
	v_fmac_f32_e32 v39, 0xbf5db3d7, v54
	v_sub_f32_e32 v50, v30, v34
	v_add_f32_e32 v30, v30, v34
	v_add_f32_e32 v51, v41, v45
	v_sub_f32_e32 v52, v42, v46
	v_add_f32_e32 v42, v42, v46
	v_sub_f32_e32 v41, v41, v45
	v_add_f32_e32 v34, v23, v34
	v_mul_lo_u16 v23, 0xab, v0
	v_add_f32_e32 v44, v24, v45
	v_add_f32_e32 v45, v53, v46
	v_add_f32_e32 v46, v58, v47
	v_add_f32_e32 v47, v57, v48
	v_fmamk_f32 v48, v43, 0xbf5db3d7, v40
	v_fmac_f32_e32 v40, 0x3f5db3d7, v43
	v_mul_f32_e32 v57, -0.5, v39
	v_mov_b32_e32 v54, 0xaaab
	v_lshrrev_b16 v53, 10, v23
	v_fma_f32 v37, -0.5, v51, v37
	v_fma_f32 v38, -0.5, v42, v38
	v_fmac_f32_e32 v57, 0x3f5db3d7, v40
	v_mul_f32_e32 v40, -0.5, v40
	v_fma_f32 v49, -0.5, v49, v25
	v_fmac_f32_e32 v28, -0.5, v32
	v_mul_u32_u24_sdwa v24, v20, v54 dst_sel:DWORD dst_unused:UNUSED_PAD src0_sel:WORD_0 src1_sel:DWORD
	v_mul_lo_u16 v43, v53, 6
	v_fma_f32 v62, -0.5, v30, v26
	v_fma_f32 v27, -0.5, v55, v27
	v_fmamk_f32 v42, v50, 0x3f5db3d7, v49
	v_fmac_f32_e32 v49, 0xbf5db3d7, v50
	v_fmamk_f32 v50, v52, 0x3f5db3d7, v37
	v_fmac_f32_e32 v37, 0xbf5db3d7, v52
	v_fmamk_f32 v52, v41, 0xbf5db3d7, v38
	v_fmamk_f32 v55, v31, 0xbf5db3d7, v28
	v_fmac_f32_e32 v28, 0x3f5db3d7, v31
	v_fmac_f32_e32 v40, 0xbf5db3d7, v39
	v_lshrrev_b32_e32 v58, 18, v24
	v_sub_nc_u16 v61, v0, v43
	v_fmamk_f32 v43, v29, 0xbf5db3d7, v62
	v_fmac_f32_e32 v62, 0x3f5db3d7, v29
	v_fmac_f32_e32 v38, 0x3f5db3d7, v41
	v_add_f32_e32 v25, v33, v44
	v_add_f32_e32 v26, v34, v45
	v_sub_f32_e32 v29, v33, v44
	v_sub_f32_e32 v30, v34, v45
	v_add_f32_e32 v31, v35, v46
	v_add_f32_e32 v32, v36, v47
	v_sub_f32_e32 v33, v35, v46
	v_sub_f32_e32 v34, v36, v47
	v_mul_f32_e32 v35, 0x3f5db3d7, v52
	v_add_f32_e32 v36, v28, v40
	v_sub_f32_e32 v28, v28, v40
	v_mul_f32_e32 v40, 0xbf5db3d7, v50
	v_mul_f32_e32 v44, -0.5, v37
	v_mov_b32_e32 v22, 3
	v_mul_f32_e32 v45, -0.5, v38
	v_fmac_f32_e32 v35, 0.5, v50
	v_mul_lo_u16 v46, v58, 6
	v_fmac_f32_e32 v40, 0.5, v52
	v_mul_f32_e32 v47, 0x3f5db3d7, v48
	v_fmac_f32_e32 v44, 0x3f5db3d7, v38
	v_mul_f32_e32 v50, 0xbf5db3d7, v60
	v_fmac_f32_e32 v45, 0xbf5db3d7, v37
	v_add_f32_e32 v37, v42, v35
	v_add_f32_e32 v38, v43, v40
	v_sub_f32_e32 v39, v42, v35
	v_sub_f32_e32 v40, v43, v40
	v_add_f32_e32 v41, v49, v44
	v_sub_f32_e32 v43, v49, v44
	v_fmamk_f32 v49, v56, 0x3f5db3d7, v27
	v_mul_u32_u24_sdwa v35, v61, v22 dst_sel:DWORD dst_unused:UNUSED_PAD src0_sel:BYTE_0 src1_sel:DWORD
	v_fmac_f32_e32 v47, 0.5, v60
	v_sub_nc_u16 v60, v20, v46
	v_fmac_f32_e32 v50, 0.5, v48
	v_fmac_f32_e32 v27, 0xbf5db3d7, v56
	v_add_f32_e32 v42, v62, v45
	v_sub_f32_e32 v44, v62, v45
	v_lshlrev_b32_e32 v62, 3, v35
	v_add_f32_e32 v45, v49, v47
	v_sub_f32_e32 v47, v49, v47
	v_mul_lo_u16 v49, v60, 3
	v_add_nc_u32_e32 v51, 0x3000, v59
	v_add_f32_e32 v46, v55, v50
	v_add_nc_u32_e32 v52, 0x3010, v59
	v_add_f32_e32 v35, v27, v57
	v_sub_f32_e32 v27, v27, v57
	v_add_nc_u32_e32 v56, 0x3020, v59
	v_sub_f32_e32 v48, v55, v50
	ds_write2_b64 v59, v[25:26], v[37:38] offset1:1
	ds_write2_b64 v59, v[41:42], v[29:30] offset0:2 offset1:3
	ds_write2_b64 v59, v[39:40], v[43:44] offset0:4 offset1:5
	ds_write2_b64 v51, v[31:32], v[45:46] offset1:1
	ds_write2_b64 v52, v[35:36], v[33:34] offset1:1
	;; [unrolled: 1-line block ×3, first 2 shown]
	s_waitcnt lgkmcnt(0)
	s_barrier
	buffer_gl0_inv
	global_load_dwordx4 v[25:28], v62, s[12:13]
	v_lshlrev_b32_sdwa v37, v22, v49 dst_sel:DWORD dst_unused:UNUSED_PAD src0_sel:DWORD src1_sel:WORD_0
	v_mul_u32_u24_sdwa v51, v8, v54 dst_sel:DWORD dst_unused:UNUSED_PAD src0_sel:WORD_0 src1_sel:DWORD
	global_load_dwordx4 v[29:32], v37, s[12:13]
	v_lshrrev_b32_e32 v52, 18, v51
	v_mul_lo_u16 v33, v52, 6
	v_sub_nc_u16 v54, v8, v33
	v_mul_lo_u16 v33, v54, 3
	v_lshlrev_b32_sdwa v38, v22, v33 dst_sel:DWORD dst_unused:UNUSED_PAD src0_sel:DWORD src1_sel:WORD_0
	s_clause 0x3
	global_load_dwordx4 v[33:36], v38, s[12:13]
	global_load_dwordx2 v[41:42], v62, s[12:13] offset:16
	global_load_dwordx2 v[43:44], v38, s[12:13] offset:16
	;; [unrolled: 1-line block ×3, first 2 shown]
	ds_read_b64 v[47:48], v7
	ds_read2st64_b64 v[37:40], v1 offset0:20 offset1:24
	ds_read_b64 v[49:50], v1 offset:22528
	v_lshrrev_b16 v62, 12, v23
	s_waitcnt vmcnt(5) lgkmcnt(2)
	v_mul_f32_e32 v55, v26, v48
	v_mul_f32_e32 v56, v26, v47
	s_waitcnt lgkmcnt(1)
	v_mul_f32_e32 v26, v28, v40
	v_fma_f32 v47, v25, v47, -v55
	v_fmac_f32_e32 v56, v25, v48
	v_mul_f32_e32 v48, v28, v39
	s_waitcnt vmcnt(4)
	v_mul_f32_e32 v25, v38, v30
	v_fma_f32 v39, v27, v39, -v26
	v_fmac_f32_e32 v48, v27, v40
	v_mul_f32_e32 v40, v37, v30
	v_fma_f32 v37, v37, v29, -v25
	ds_read2st64_b64 v[25:28], v1 offset0:28 offset1:32
	v_fmac_f32_e32 v40, v38, v29
	s_waitcnt lgkmcnt(0)
	v_mul_f32_e32 v29, v28, v32
	v_mul_f32_e32 v32, v27, v32
	s_waitcnt vmcnt(3)
	v_mul_f32_e32 v30, v36, v26
	v_fma_f32 v38, v27, v31, -v29
	v_fmac_f32_e32 v32, v28, v31
	v_mul_f32_e32 v31, v36, v25
	v_fma_f32 v36, v35, v25, -v30
	v_fmac_f32_e32 v31, v35, v26
	ds_read2st64_b64 v[25:28], v1 offset0:36 offset1:40
	s_waitcnt vmcnt(2) lgkmcnt(0)
	v_mul_f32_e32 v29, v42, v26
	v_mul_f32_e32 v35, v42, v25
	s_waitcnt vmcnt(1)
	v_mul_f32_e32 v30, v28, v44
	v_fma_f32 v42, v41, v25, -v29
	v_fmac_f32_e32 v35, v41, v26
	v_mul_f32_e32 v41, v27, v44
	v_fma_f32 v44, v27, v43, -v30
	s_waitcnt vmcnt(0)
	v_mul_f32_e32 v30, v50, v46
	v_fmac_f32_e32 v41, v28, v43
	ds_read2st64_b64 v[25:28], v1 offset0:8 offset1:16
	s_waitcnt lgkmcnt(0)
	v_mul_f32_e32 v29, v34, v28
	v_mul_f32_e32 v34, v34, v27
	v_sub_f32_e32 v63, v26, v32
	v_fma_f32 v43, v33, v27, -v29
	v_fmac_f32_e32 v34, v33, v28
	v_mul_f32_e32 v33, v49, v46
	v_fma_f32 v46, v49, v45, -v30
	ds_read2st64_b64 v[27:30], v1 offset1:4
	s_waitcnt lgkmcnt(0)
	s_barrier
	v_fmac_f32_e32 v33, v50, v45
	buffer_gl0_inv
	v_sub_f32_e32 v39, v27, v39
	v_sub_f32_e32 v45, v28, v48
	;; [unrolled: 1-line block ×4, first 2 shown]
	v_mul_lo_u16 v31, v58, 24
	v_fma_f32 v50, v27, 2.0, -v39
	v_mov_b32_e32 v27, 24
	v_fma_f32 v55, v28, 2.0, -v45
	v_fma_f32 v57, v29, 2.0, -v48
	;; [unrolled: 1-line block ×3, first 2 shown]
	v_mul_lo_u16 v28, v62, 24
	v_mul_u32_u24_sdwa v27, v53, v27 dst_sel:DWORD dst_unused:UNUSED_PAD src0_sel:WORD_0 src1_sel:DWORD
	v_lshrrev_b32_e32 v53, 20, v51
	v_mul_lo_u16 v30, v52, 24
	v_sub_nc_u16 v52, v0, v28
	v_or_b32_sdwa v27, v27, v61 dst_sel:DWORD dst_unused:UNUSED_PAD src0_sel:DWORD src1_sel:BYTE_0
	v_mul_lo_u16 v29, v53, 24
	v_sub_f32_e32 v61, v25, v38
	v_or_b32_e32 v28, v30, v54
	v_or_b32_e32 v30, v31, v60
	v_fma_f32 v60, v26, 2.0, -v63
	v_sub_nc_u16 v58, v8, v29
	v_fma_f32 v54, v25, 2.0, -v61
	v_and_b32_e32 v26, 0xffff, v28
	v_and_b32_e32 v28, 0xffff, v30
	v_mul_u32_u24_sdwa v29, v52, v22 dst_sel:DWORD dst_unused:UNUSED_PAD src0_sel:BYTE_0 src1_sel:DWORD
	v_mul_lo_u16 v25, v58, 3
	v_lshl_add_u32 v64, v27, 3, 0
	v_lshl_add_u32 v67, v26, 3, 0
	v_sub_f32_e32 v26, v47, v42
	v_lshl_add_u32 v68, v28, 3, 0
	v_lshlrev_b32_sdwa v66, v22, v25 dst_sel:DWORD dst_unused:UNUSED_PAD src0_sel:DWORD src1_sel:WORD_0
	v_sub_f32_e32 v25, v56, v35
	v_sub_f32_e32 v28, v43, v44
	;; [unrolled: 1-line block ×3, first 2 shown]
	v_lshlrev_b32_e32 v65, 3, v29
	v_sub_f32_e32 v30, v37, v46
	v_sub_f32_e32 v29, v40, v33
	v_fma_f32 v31, v47, 2.0, -v26
	v_fma_f32 v32, v56, 2.0, -v25
	;; [unrolled: 1-line block ×4, first 2 shown]
	v_sub_f32_e32 v25, v39, v25
	v_fma_f32 v41, v37, 2.0, -v30
	v_fma_f32 v40, v40, 2.0, -v29
	v_add_f32_e32 v26, v45, v26
	v_sub_f32_e32 v31, v50, v31
	v_sub_f32_e32 v32, v55, v32
	;; [unrolled: 1-line block ×3, first 2 shown]
	v_add_f32_e32 v28, v49, v28
	v_sub_f32_e32 v35, v57, v35
	v_sub_f32_e32 v36, v59, v36
	;; [unrolled: 1-line block ×3, first 2 shown]
	v_add_f32_e32 v30, v63, v30
	v_fma_f32 v33, v39, 2.0, -v25
	v_sub_f32_e32 v39, v54, v41
	v_sub_f32_e32 v40, v60, v40
	v_fma_f32 v34, v45, 2.0, -v26
	v_fma_f32 v43, v50, 2.0, -v31
	;; [unrolled: 1-line block ×11, first 2 shown]
	ds_write2_b64 v64, v[31:32], v[25:26] offset0:12 offset1:18
	ds_write2_b64 v64, v[43:44], v[33:34] offset1:6
	ds_write2_b64 v67, v[45:46], v[37:38] offset1:6
	ds_write2_b64 v67, v[35:36], v[27:28] offset0:12 offset1:18
	ds_write2_b64 v68, v[47:48], v[41:42] offset1:6
	ds_write2_b64 v68, v[39:40], v[29:30] offset0:12 offset1:18
	s_waitcnt lgkmcnt(0)
	s_barrier
	buffer_gl0_inv
	s_clause 0x1
	global_load_dwordx2 v[41:42], v65, s[12:13] offset:160
	global_load_dwordx2 v[43:44], v66, s[12:13] offset:160
	v_lshrrev_b32_e32 v49, 20, v24
	v_lshrrev_b16 v59, 14, v23
	v_lshrrev_b32_e32 v61, 22, v24
	v_lshrrev_b32_e32 v60, 22, v51
	v_mul_lo_u16 v25, v49, 24
	v_mul_lo_u16 v49, 0x60, v49
	;; [unrolled: 1-line block ×3, first 2 shown]
	v_sub_nc_u16 v50, v20, v25
	global_load_dwordx4 v[25:28], v65, s[12:13] offset:144
	v_sub_nc_u16 v20, v20, v51
	v_mul_lo_u16 v29, v50, 3
	v_lshlrev_b32_sdwa v37, v22, v29 dst_sel:DWORD dst_unused:UNUSED_PAD src0_sel:DWORD src1_sel:WORD_0
	s_clause 0x2
	global_load_dwordx4 v[29:32], v37, s[12:13] offset:144
	global_load_dwordx4 v[33:36], v66, s[12:13] offset:144
	global_load_dwordx2 v[45:46], v37, s[12:13] offset:160
	ds_read2st64_b64 v[37:40], v1 offset0:36 offset1:40
	s_waitcnt vmcnt(5) lgkmcnt(0)
	v_mul_f32_e32 v47, v42, v38
	v_mul_f32_e32 v54, v42, v37
	s_waitcnt vmcnt(4)
	v_mul_f32_e32 v42, v40, v44
	v_mul_f32_e32 v44, v39, v44
	v_fma_f32 v55, v41, v37, -v47
	ds_read_b64 v[47:48], v7
	v_fmac_f32_e32 v54, v41, v38
	v_fma_f32 v56, v39, v43, -v42
	v_fmac_f32_e32 v44, v40, v43
	ds_read2st64_b64 v[37:40], v1 offset0:20 offset1:24
	ds_read_b64 v[41:42], v1 offset:22528
	s_waitcnt vmcnt(3) lgkmcnt(2)
	v_mul_f32_e32 v43, v26, v48
	v_mul_f32_e32 v57, v26, v47
	s_waitcnt lgkmcnt(1)
	v_mul_f32_e32 v26, v28, v40
	v_fma_f32 v43, v25, v47, -v43
	v_fmac_f32_e32 v57, v25, v48
	v_mul_f32_e32 v47, v28, v39
	s_waitcnt vmcnt(2)
	v_mul_f32_e32 v25, v38, v30
	v_fma_f32 v39, v27, v39, -v26
	v_mul_lo_u16 v48, 0x60, v53
	v_fmac_f32_e32 v47, v27, v40
	v_mul_f32_e32 v40, v37, v30
	v_fma_f32 v37, v37, v29, -v25
	ds_read2st64_b64 v[25:28], v1 offset0:28 offset1:32
	v_fmac_f32_e32 v40, v38, v29
	s_waitcnt lgkmcnt(0)
	v_mul_f32_e32 v29, v28, v32
	v_mul_f32_e32 v32, v27, v32
	v_fma_f32 v38, v27, v31, -v29
	v_fmac_f32_e32 v32, v28, v31
	ds_read2st64_b64 v[27:30], v1 offset0:8 offset1:16
	v_mov_b32_e32 v31, 0x60
	v_mul_u32_u24_sdwa v23, v62, v31 dst_sel:DWORD dst_unused:UNUSED_PAD src0_sel:WORD_0 src1_sel:DWORD
	v_mul_lo_u16 v31, 0x60, v59
	v_or_b32_sdwa v52, v23, v52 dst_sel:DWORD dst_unused:UNUSED_PAD src0_sel:DWORD src1_sel:BYTE_0
	v_sub_nc_u16 v0, v0, v31
	s_waitcnt vmcnt(1)
	v_mul_f32_e32 v31, v36, v26
	v_mul_f32_e32 v36, v36, v25
	v_fma_f32 v31, v35, v25, -v31
	v_fmac_f32_e32 v36, v35, v26
	s_waitcnt lgkmcnt(0)
	v_mul_f32_e32 v24, v34, v30
	v_mul_f32_e32 v34, v34, v29
	v_mul_lo_u16 v35, 0x60, v60
	v_fma_f32 v29, v33, v29, -v24
	ds_read2st64_b64 v[23:26], v1 offset1:4
	v_fmac_f32_e32 v34, v33, v30
	v_or_b32_e32 v30, v48, v58
	s_waitcnt vmcnt(0)
	v_mul_f32_e32 v33, v42, v46
	v_sub_nc_u16 v53, v8, v35
	v_or_b32_e32 v35, v49, v50
	v_mul_f32_e32 v46, v41, v46
	v_and_b32_e32 v30, 0xffff, v30
	v_fma_f32 v33, v41, v45, -v33
	v_mul_lo_u16 v41, v53, 3
	v_and_b32_e32 v35, 0xffff, v35
	v_fmac_f32_e32 v46, v42, v45
	v_lshl_add_u32 v49, v52, 3, 0
	v_lshl_add_u32 v52, v30, 3, 0
	v_lshlrev_b32_sdwa v50, v22, v41 dst_sel:DWORD dst_unused:UNUSED_PAD src0_sel:DWORD src1_sel:WORD_0
	v_lshl_add_u32 v58, v35, 3, 0
	v_sub_f32_e32 v30, v43, v55
	v_sub_f32_e32 v41, v57, v54
	;; [unrolled: 1-line block ×4, first 2 shown]
	s_waitcnt lgkmcnt(0)
	v_sub_f32_e32 v35, v23, v39
	v_sub_f32_e32 v39, v24, v47
	;; [unrolled: 1-line block ×8, first 2 shown]
	v_fma_f32 v46, v23, 2.0, -v35
	v_fma_f32 v54, v24, 2.0, -v39
	;; [unrolled: 1-line block ×4, first 2 shown]
	v_sub_f32_e32 v23, v35, v41
	v_fma_f32 v55, v25, 2.0, -v42
	v_fma_f32 v56, v26, 2.0, -v36
	;; [unrolled: 1-line block ×8, first 2 shown]
	v_mul_u32_u24_sdwa v48, v0, v22 dst_sel:DWORD dst_unused:UNUSED_PAD src0_sel:BYTE_0 src1_sel:DWORD
	v_add_f32_e32 v24, v39, v30
	v_sub_f32_e32 v25, v42, v44
	v_sub_f32_e32 v29, v46, v38
	;; [unrolled: 1-line block ×3, first 2 shown]
	v_add_f32_e32 v26, v36, v31
	v_sub_f32_e32 v27, v45, v33
	v_sub_f32_e32 v33, v55, v41
	;; [unrolled: 1-line block ×3, first 2 shown]
	v_add_f32_e32 v28, v47, v32
	v_sub_f32_e32 v37, v57, v37
	v_sub_f32_e32 v38, v62, v40
	v_lshlrev_b32_e32 v48, 3, v48
	v_fma_f32 v31, v35, 2.0, -v23
	v_fma_f32 v32, v39, 2.0, -v24
	;; [unrolled: 1-line block ×12, first 2 shown]
	s_barrier
	buffer_gl0_inv
	ds_write2_b64 v49, v[29:30], v[23:24] offset0:48 offset1:72
	ds_write2_b64 v49, v[41:42], v[31:32] offset1:24
	ds_write2_b64 v52, v[43:44], v[35:36] offset1:24
	ds_write2_b64 v52, v[33:34], v[25:26] offset0:48 offset1:72
	ds_write2_b64 v58, v[45:46], v[39:40] offset1:24
	ds_write2_b64 v58, v[37:38], v[27:28] offset0:48 offset1:72
	s_waitcnt lgkmcnt(0)
	s_barrier
	buffer_gl0_inv
	s_clause 0x1
	global_load_dwordx2 v[43:44], v48, s[12:13] offset:736
	global_load_dwordx2 v[45:46], v50, s[12:13] offset:736
	v_mul_lo_u16 v27, v20, 3
	global_load_dwordx4 v[23:26], v48, s[12:13] offset:720
	v_mul_u32_u24_e32 v55, 3, v6
	v_mov_b32_e32 v54, 0x180
	v_lshlrev_b32_sdwa v22, v22, v27 dst_sel:DWORD dst_unused:UNUSED_PAD src0_sel:DWORD src1_sel:WORD_0
	s_clause 0x2
	global_load_dwordx4 v[27:30], v22, s[12:13] offset:720
	global_load_dwordx4 v[31:34], v50, s[12:13] offset:720
	global_load_dwordx2 v[47:48], v22, s[12:13] offset:736
	ds_read2st64_b64 v[35:38], v1 offset0:36 offset1:40
	ds_read_b64 v[49:50], v7
	ds_read2st64_b64 v[39:42], v1 offset0:20 offset1:24
	v_add_nc_u32_e32 v22, 0xffffff80, v6
	ds_read_b64 v[51:52], v1 offset:22528
	v_cndmask_b32_e64 v56, v22, v8, s0
	s_waitcnt vmcnt(5) lgkmcnt(3)
	v_mul_f32_e32 v22, v44, v36
	v_mul_f32_e32 v57, v44, v35
	s_waitcnt vmcnt(4)
	v_mul_f32_e32 v58, v38, v46
	v_mul_f32_e32 v46, v37, v46
	s_waitcnt vmcnt(3) lgkmcnt(1)
	v_mul_f32_e32 v63, v26, v41
	v_fma_f32 v62, v43, v35, -v22
	v_fmac_f32_e32 v57, v43, v36
	v_fma_f32 v58, v37, v45, -v58
	v_fmac_f32_e32 v46, v38, v45
	ds_read2st64_b64 v[35:38], v1 offset0:28 offset1:32
	v_mul_f32_e32 v22, v24, v50
	v_mul_f32_e32 v45, v24, v49
	;; [unrolled: 1-line block ×3, first 2 shown]
	v_mov_b32_e32 v44, v9
	v_mul_i32_i24_e32 v43, 3, v56
	v_fma_f32 v49, v23, v49, -v22
	s_waitcnt vmcnt(2)
	v_mul_f32_e32 v22, v40, v28
	v_fmac_f32_e32 v45, v23, v50
	v_fma_f32 v50, v25, v41, -v24
	v_fmac_f32_e32 v63, v25, v42
	v_mul_f32_e32 v64, v39, v28
	v_lshlrev_b32_e32 v26, 3, v55
	v_fma_f32 v39, v39, v27, -v22
	ds_read2st64_b64 v[22:25], v1 offset0:8 offset1:16
	v_lshlrev_b64 v[41:42], 3, v[43:44]
	v_mul_u32_u24_sdwa v28, v59, v54 dst_sel:DWORD dst_unused:UNUSED_PAD src0_sel:WORD_0 src1_sel:DWORD
	v_fmac_f32_e32 v64, v40, v27
	v_add_co_u32 v54, s0, s12, v26
	v_mul_lo_u16 v26, 0x180, v60
	s_waitcnt lgkmcnt(1)
	v_mul_f32_e32 v27, v38, v30
	v_mul_f32_e32 v30, v37, v30
	v_add_co_ci_u32_e64 v55, null, s13, 0, s0
	v_or_b32_sdwa v0, v28, v0 dst_sel:DWORD dst_unused:UNUSED_PAD src0_sel:DWORD src1_sel:BYTE_0
	v_add_co_u32 v59, s0, s12, v41
	v_or_b32_e32 v41, v26, v53
	v_fma_f32 v37, v37, v29, -v27
	v_fmac_f32_e32 v30, v38, v29
	ds_read2st64_b64 v[26:29], v1 offset1:4
	v_add_co_ci_u32_e64 v60, s0, s13, v42, s0
	s_waitcnt vmcnt(1)
	v_mul_f32_e32 v42, v34, v36
	v_mul_f32_e32 v34, v34, v35
	v_mul_lo_u16 v40, 0x180, v61
	s_waitcnt lgkmcnt(1)
	v_mul_f32_e32 v38, v32, v24
	v_lshl_add_u32 v0, v0, 3, 0
	v_fma_f32 v35, v33, v35, -v42
	v_fmac_f32_e32 v34, v33, v36
	v_mul_f32_e32 v36, v32, v25
	v_or_b32_e32 v20, v40, v20
	v_fmac_f32_e32 v38, v31, v25
	s_waitcnt vmcnt(0)
	v_mul_f32_e32 v40, v52, v48
	v_add_co_u32 v32, s0, 0xbd0, v54
	v_fma_f32 v36, v31, v24, -v36
	v_and_b32_e32 v31, 0xffff, v41
	v_mul_f32_e32 v41, v51, v48
	v_and_b32_e32 v20, 0xffff, v20
	s_waitcnt lgkmcnt(0)
	v_sub_f32_e32 v42, v27, v63
	v_sub_f32_e32 v43, v28, v35
	v_lshl_add_u32 v61, v31, 3, 0
	v_fma_f32 v31, v51, v47, -v40
	v_sub_f32_e32 v40, v26, v50
	v_sub_f32_e32 v44, v29, v34
	v_fmac_f32_e32 v41, v52, v47
	v_fma_f32 v48, v27, 2.0, -v42
	v_sub_f32_e32 v27, v49, v62
	v_fma_f32 v47, v26, 2.0, -v40
	v_sub_f32_e32 v26, v45, v57
	v_fma_f32 v51, v28, 2.0, -v43
	v_fma_f32 v52, v29, 2.0, -v44
	v_sub_f32_e32 v29, v36, v58
	v_sub_f32_e32 v28, v38, v46
	;; [unrolled: 1-line block ×6, first 2 shown]
	v_fma_f32 v34, v49, 2.0, -v27
	v_fma_f32 v35, v45, 2.0, -v26
	;; [unrolled: 1-line block ×4, first 2 shown]
	v_sub_f32_e32 v26, v40, v26
	v_fma_f32 v49, v22, 2.0, -v46
	v_fma_f32 v58, v23, 2.0, -v57
	v_fma_f32 v41, v39, 2.0, -v30
	v_fma_f32 v45, v64, 2.0, -v31
	v_add_f32_e32 v27, v42, v27
	v_add_f32_e32 v29, v44, v29
	v_sub_f32_e32 v22, v46, v31
	v_add_f32_e32 v23, v57, v30
	v_sub_f32_e32 v30, v47, v34
	v_sub_f32_e32 v31, v48, v35
	;; [unrolled: 1-line block ×5, first 2 shown]
	v_fma_f32 v34, v40, 2.0, -v26
	v_sub_f32_e32 v40, v49, v41
	v_sub_f32_e32 v41, v58, v45
	v_add_nc_u32_e32 v53, 0x400, v0
	v_lshl_add_u32 v20, v20, 3, 0
	v_add_co_ci_u32_e64 v33, s0, 0, v55, s0
	v_fma_f32 v35, v42, 2.0, -v27
	v_fma_f32 v39, v44, 2.0, -v29
	;; [unrolled: 1-line block ×4, first 2 shown]
	v_add_co_u32 v24, s0, 0xbd0, v59
	v_fma_f32 v38, v43, 2.0, -v28
	v_fma_f32 v42, v46, 2.0, -v22
	;; [unrolled: 1-line block ×4, first 2 shown]
	v_add_nc_u32_e32 v50, 0x400, v61
	v_add_co_ci_u32_e64 v25, s0, 0, v60, s0
	v_fma_f32 v43, v57, 2.0, -v23
	v_fma_f32 v48, v49, 2.0, -v40
	;; [unrolled: 1-line block ×3, first 2 shown]
	v_add_nc_u32_e32 v63, 0x400, v20
	s_barrier
	buffer_gl0_inv
	ds_write2_b64 v53, v[30:31], v[26:27] offset0:64 offset1:160
	ds_write2_b64 v0, v[44:45], v[34:35] offset1:96
	ds_write2_b64 v61, v[46:47], v[38:39] offset1:96
	ds_write2_b64 v50, v[36:37], v[28:29] offset0:64 offset1:160
	ds_write2_b64 v20, v[48:49], v[42:43] offset1:96
	ds_write2_b64 v63, v[40:41], v[22:23] offset0:64 offset1:160
	v_add_co_u32 v22, s0, 0x800, v54
	s_waitcnt lgkmcnt(0)
	s_barrier
	buffer_gl0_inv
	global_load_dwordx2 v[38:39], v[32:33], off offset:16
	v_add_co_ci_u32_e64 v23, s0, 0, v55, s0
	s_clause 0x1
	global_load_dwordx2 v[40:41], v[24:25], off offset:16
	global_load_dwordx4 v[22:25], v[22:23], off offset:976
	v_add_co_u32 v26, s0, 0x800, v59
	v_add_co_ci_u32_e64 v27, s0, 0, v60, s0
	v_add_co_u32 v30, s0, 0x1000, v54
	v_add_co_ci_u32_e64 v31, s0, 0, v55, s0
	global_load_dwordx4 v[26:29], v[26:27], off offset:976
	v_add_co_u32 v34, s0, 0x17d0, v54
	global_load_dwordx4 v[30:33], v[30:31], off offset:2000
	v_add_co_ci_u32_e64 v35, s0, 0, v55, s0
	v_add_co_u32 v0, s0, s12, v10
	v_add_co_ci_u32_e64 v10, s0, s13, v11, s0
	global_load_dwordx2 v[42:43], v[34:35], off offset:16
	v_cmp_lt_u32_e64 s0, 0x17f, v8
	ds_read_b64 v[50:51], v7
	ds_read2st64_b64 v[34:37], v1 offset0:28 offset1:32
	v_cndmask_b32_e64 v8, 0, 0x600, s0
	v_add_co_u32 v44, s0, 0x2800, v0
	v_add_co_ci_u32_e64 v45, s0, 0, v10, s0
	v_add_co_u32 v0, s0, s12, v21
	v_add_co_ci_u32_e64 v10, null, s13, 0, s0
	v_or_b32_e32 v8, v8, v56
	v_add_co_u32 v46, s0, 0x2800, v0
	v_add_co_ci_u32_e64 v47, s0, 0, v10, s0
	v_add_co_u32 v0, s0, s12, v12
	v_add_co_ci_u32_e64 v10, s0, s13, v13, s0
	v_lshl_add_u32 v8, v8, 3, 0
	v_add_co_u32 v48, s0, 0x2800, v0
	v_add_co_ci_u32_e64 v49, s0, 0, v10, s0
	ds_read2st64_b64 v[10:13], v1 offset0:36 offset1:40
	v_add_co_u32 v0, s0, s12, v14
	v_add_co_ci_u32_e64 v20, s0, s13, v15, s0
	v_add_co_u32 v54, s0, s12, v16
	v_add_co_ci_u32_e64 v55, s0, s13, v17, s0
	v_add_co_u32 v56, s0, s12, v18
	ds_read2st64_b64 v[14:17], v1 offset0:20 offset1:24
	v_add_co_ci_u32_e64 v57, s0, s13, v19, s0
	v_add_co_u32 v52, s0, 0x2800, v0
	v_add_co_ci_u32_e64 v53, s0, 0, v20, s0
	ds_read2st64_b64 v[18:21], v1 offset0:8 offset1:16
	s_waitcnt vmcnt(5) lgkmcnt(2)
	v_mul_f32_e32 v0, v39, v11
	v_mul_f32_e32 v58, v39, v10
	s_waitcnt vmcnt(4)
	v_mul_f32_e32 v59, v13, v41
	v_mul_f32_e32 v60, v12, v41
	v_fma_f32 v0, v38, v10, -v0
	v_fmac_f32_e32 v58, v38, v11
	ds_read_b64 v[38:39], v1 offset:22528
	s_waitcnt vmcnt(3)
	v_mul_f32_e32 v61, v23, v51
	v_mul_f32_e32 v23, v23, v50
	v_fma_f32 v59, v12, v40, -v59
	v_fmac_f32_e32 v60, v13, v40
	v_add_co_u32 v40, s0, 0x2800, v54
	s_waitcnt lgkmcnt(2)
	v_mul_f32_e32 v54, v25, v17
	v_fma_f32 v50, v22, v50, -v61
	v_fmac_f32_e32 v23, v22, v51
	v_mul_f32_e32 v22, v25, v16
	ds_read2st64_b64 v[10:13], v1 offset1:4
	v_fma_f32 v16, v24, v16, -v54
	s_waitcnt vmcnt(2) lgkmcnt(2)
	v_mul_f32_e32 v25, v27, v21
	v_sub_f32_e32 v0, v50, v0
	v_fmac_f32_e32 v22, v24, v17
	v_mul_f32_e32 v17, v27, v20
	v_mul_f32_e32 v24, v29, v35
	;; [unrolled: 1-line block ×3, first 2 shown]
	s_waitcnt vmcnt(1)
	v_mul_f32_e32 v29, v15, v31
	v_fma_f32 v20, v26, v20, -v25
	v_fmac_f32_e32 v17, v26, v21
	v_fma_f32 v21, v28, v34, -v24
	v_mul_f32_e32 v24, v14, v31
	v_fmac_f32_e32 v27, v28, v35
	v_mul_f32_e32 v25, v37, v33
	v_mul_f32_e32 v26, v36, v33
	s_waitcnt vmcnt(0) lgkmcnt(1)
	v_mul_f32_e32 v28, v39, v43
	v_fmac_f32_e32 v24, v15, v30
	v_mul_f32_e32 v15, v38, v43
	v_fma_f32 v14, v14, v30, -v29
	v_fma_f32 v25, v36, v32, -v25
	v_fmac_f32_e32 v26, v37, v32
	v_fma_f32 v28, v38, v42, -v28
	v_fmac_f32_e32 v15, v39, v42
	s_waitcnt lgkmcnt(0)
	v_sub_f32_e32 v29, v10, v16
	v_sub_f32_e32 v22, v11, v22
	v_sub_f32_e32 v16, v23, v58
	v_sub_f32_e32 v30, v12, v21
	v_sub_f32_e32 v27, v13, v27
	v_sub_f32_e32 v21, v20, v59
	v_sub_f32_e32 v31, v17, v60
	v_sub_f32_e32 v32, v18, v25
	v_sub_f32_e32 v33, v19, v26
	v_sub_f32_e32 v25, v14, v28
	v_sub_f32_e32 v15, v24, v15
	v_fma_f32 v28, v10, 2.0, -v29
	v_fma_f32 v34, v11, 2.0, -v22
	v_fma_f32 v26, v50, 2.0, -v0
	v_fma_f32 v23, v23, 2.0, -v16
	v_add_f32_e32 v11, v22, v0
	v_fma_f32 v0, v12, 2.0, -v30
	v_fma_f32 v35, v13, 2.0, -v27
	;; [unrolled: 1-line block ×4, first 2 shown]
	v_sub_f32_e32 v12, v30, v31
	v_fma_f32 v37, v18, 2.0, -v32
	v_fma_f32 v38, v19, 2.0, -v33
	;; [unrolled: 1-line block ×4, first 2 shown]
	v_sub_f32_e32 v10, v29, v16
	v_sub_f32_e32 v16, v28, v26
	;; [unrolled: 1-line block ×3, first 2 shown]
	v_add_f32_e32 v13, v27, v21
	v_sub_f32_e32 v20, v0, v20
	v_sub_f32_e32 v21, v35, v36
	;; [unrolled: 1-line block ×3, first 2 shown]
	v_add_f32_e32 v15, v33, v25
	v_sub_f32_e32 v24, v37, v31
	v_sub_f32_e32 v25, v38, v39
	v_fma_f32 v18, v29, 2.0, -v10
	v_fma_f32 v19, v22, 2.0, -v11
	;; [unrolled: 1-line block ×8, first 2 shown]
	v_add_co_ci_u32_e64 v41, s0, 0, v55, s0
	v_fma_f32 v26, v32, 2.0, -v14
	v_fma_f32 v27, v33, 2.0, -v15
	;; [unrolled: 1-line block ×4, first 2 shown]
	s_barrier
	buffer_gl0_inv
	ds_write2st64_b64 v1, v[16:17], v[10:11] offset0:12 offset1:18
	ds_write2st64_b64 v1, v[28:29], v[18:19] offset1:6
	ds_write2st64_b64 v8, v[30:31], v[22:23] offset1:6
	ds_write2st64_b64 v8, v[20:21], v[12:13] offset0:12 offset1:18
	ds_write2st64_b64 v1, v[32:33], v[26:27] offset0:26 offset1:32
	;; [unrolled: 1-line block ×3, first 2 shown]
	v_add_co_u32 v10, s0, 0x2800, v56
	v_add_co_ci_u32_e64 v11, s0, 0, v57, s0
	s_waitcnt lgkmcnt(0)
	s_barrier
	buffer_gl0_inv
	s_clause 0x5
	global_load_dwordx2 v[30:31], v[44:45], off offset:2000
	global_load_dwordx2 v[32:33], v[48:49], off offset:2000
	;; [unrolled: 1-line block ×6, first 2 shown]
	ds_read2st64_b64 v[10:13], v1 offset0:20 offset1:24
	ds_read2st64_b64 v[14:17], v1 offset0:28 offset1:32
	;; [unrolled: 1-line block ×3, first 2 shown]
	ds_read_b64 v[42:43], v1 offset:22528
	ds_read_b64 v[44:45], v7
	ds_read2st64_b64 v[22:25], v1 offset1:4
	ds_read2st64_b64 v[26:29], v1 offset0:8 offset1:16
	s_waitcnt vmcnt(0) lgkmcnt(0)
	s_barrier
	buffer_gl0_inv
	v_mul_f32_e32 v0, v31, v13
	v_mul_f32_e32 v8, v31, v12
	;; [unrolled: 1-line block ×12, first 2 shown]
	v_fma_f32 v0, v30, v12, -v0
	v_fmac_f32_e32 v8, v30, v13
	v_fma_f32 v14, v32, v14, -v31
	v_fmac_f32_e32 v33, v32, v15
	;; [unrolled: 2-line block ×6, first 2 shown]
	v_sub_f32_e32 v12, v22, v0
	v_sub_f32_e32 v13, v23, v8
	;; [unrolled: 1-line block ×12, first 2 shown]
	v_fma_f32 v22, v22, 2.0, -v12
	v_fma_f32 v23, v23, 2.0, -v13
	;; [unrolled: 1-line block ×12, first 2 shown]
	ds_write2st64_b64 v1, v[12:13], v[14:15] offset0:24 offset1:28
	ds_write_b64 v1, v[16:17] offset:16384
	ds_write2st64_b64 v1, v[22:23], v[24:25] offset1:4
	ds_write_b64 v1, v[26:27] offset:4096
	ds_write2st64_b64 v7, v[32:33], v[18:19] offset1:24
	ds_write2st64_b64 v1, v[28:29], v[10:11] offset0:16 offset1:20
	ds_write2st64_b64 v1, v[20:21], v[30:31] offset0:40 offset1:44
	s_waitcnt lgkmcnt(0)
	s_barrier
	buffer_gl0_inv
	s_and_saveexec_b32 s0, vcc_lo
	s_cbranch_execz .LBB0_21
; %bb.20:
	v_mul_lo_u32 v7, s3, v4
	v_mul_lo_u32 v5, s2, v5
	v_mad_u64_u32 v[0:1], null, s2, v4, 0
	v_lshl_add_u32 v24, v6, 3, 0
	v_add_nc_u32_e32 v8, 0x100, v6
	v_lshlrev_b64 v[16:17], 3, v[8:9]
	v_add3_u32 v1, v1, v5, v7
	v_mov_b32_e32 v7, v9
	v_lshlrev_b64 v[4:5], 3, v[2:3]
	v_add_nc_u32_e32 v8, 0x200, v6
	v_lshlrev_b64 v[10:11], 3, v[0:1]
	v_lshlrev_b64 v[14:15], 3, v[6:7]
	ds_read2st64_b64 v[0:3], v24 offset1:4
	v_add_co_u32 v7, vcc_lo, s10, v10
	v_add_co_ci_u32_e32 v18, vcc_lo, s11, v11, vcc_lo
	ds_read2st64_b64 v[10:13], v24 offset0:8 offset1:12
	v_add_co_u32 v25, vcc_lo, v7, v4
	v_add_co_ci_u32_e32 v26, vcc_lo, v18, v5, vcc_lo
	v_lshlrev_b64 v[4:5], 3, v[8:9]
	v_add_co_u32 v14, vcc_lo, v25, v14
	v_add_nc_u32_e32 v8, 0x300, v6
	v_add_co_ci_u32_e32 v15, vcc_lo, v26, v15, vcc_lo
	v_add_co_u32 v16, vcc_lo, v25, v16
	v_add_co_ci_u32_e32 v17, vcc_lo, v26, v17, vcc_lo
	v_add_co_u32 v4, vcc_lo, v25, v4
	v_lshlrev_b64 v[18:19], 3, v[8:9]
	v_add_nc_u32_e32 v8, 0x400, v6
	v_add_co_ci_u32_e32 v5, vcc_lo, v26, v5, vcc_lo
	s_waitcnt lgkmcnt(1)
	global_store_dwordx2 v[14:15], v[0:1], off
	global_store_dwordx2 v[16:17], v[2:3], off
	s_waitcnt lgkmcnt(0)
	global_store_dwordx2 v[4:5], v[10:11], off
	v_lshlrev_b64 v[4:5], 3, v[8:9]
	v_add_nc_u32_e32 v8, 0x500, v6
	ds_read2st64_b64 v[0:3], v24 offset0:16 offset1:20
	v_add_co_u32 v10, vcc_lo, v25, v18
	ds_read2st64_b64 v[14:17], v24 offset0:24 offset1:28
	v_add_co_ci_u32_e32 v11, vcc_lo, v26, v19, vcc_lo
	v_lshlrev_b64 v[18:19], 3, v[8:9]
	v_add_nc_u32_e32 v8, 0x600, v6
	v_add_co_u32 v4, vcc_lo, v25, v4
	v_add_co_ci_u32_e32 v5, vcc_lo, v26, v5, vcc_lo
	v_lshlrev_b64 v[20:21], 3, v[8:9]
	v_add_nc_u32_e32 v8, 0x700, v6
	v_add_co_u32 v18, vcc_lo, v25, v18
	;; [unrolled: 4-line block ×3, first 2 shown]
	v_add_co_ci_u32_e32 v21, vcc_lo, v26, v21, vcc_lo
	global_store_dwordx2 v[10:11], v[12:13], off
	s_waitcnt lgkmcnt(1)
	global_store_dwordx2 v[4:5], v[0:1], off
	global_store_dwordx2 v[18:19], v[2:3], off
	s_waitcnt lgkmcnt(0)
	global_store_dwordx2 v[20:21], v[14:15], off
	v_lshlrev_b64 v[4:5], 3, v[8:9]
	v_add_nc_u32_e32 v8, 0x900, v6
	ds_read2st64_b64 v[0:3], v24 offset0:32 offset1:36
	ds_read2st64_b64 v[10:13], v24 offset0:40 offset1:44
	v_add_co_u32 v14, vcc_lo, v25, v22
	v_lshlrev_b64 v[18:19], 3, v[8:9]
	v_add_nc_u32_e32 v8, 0xa00, v6
	v_add_co_ci_u32_e32 v15, vcc_lo, v26, v23, vcc_lo
	v_add_co_u32 v4, vcc_lo, v25, v4
	v_lshlrev_b64 v[20:21], 3, v[8:9]
	v_add_nc_u32_e32 v8, 0xb00, v6
	v_add_co_ci_u32_e32 v5, vcc_lo, v26, v5, vcc_lo
	v_add_co_u32 v6, vcc_lo, v25, v18
	v_lshlrev_b64 v[8:9], 3, v[8:9]
	v_add_co_ci_u32_e32 v7, vcc_lo, v26, v19, vcc_lo
	v_add_co_u32 v18, vcc_lo, v25, v20
	v_add_co_ci_u32_e32 v19, vcc_lo, v26, v21, vcc_lo
	v_add_co_u32 v8, vcc_lo, v25, v8
	v_add_co_ci_u32_e32 v9, vcc_lo, v26, v9, vcc_lo
	global_store_dwordx2 v[14:15], v[16:17], off
	s_waitcnt lgkmcnt(1)
	global_store_dwordx2 v[4:5], v[0:1], off
	global_store_dwordx2 v[6:7], v[2:3], off
	s_waitcnt lgkmcnt(0)
	global_store_dwordx2 v[18:19], v[10:11], off
	global_store_dwordx2 v[8:9], v[12:13], off
.LBB0_21:
	s_endpgm
	.section	.rodata,"a",@progbits
	.p2align	6, 0x0
	.amdhsa_kernel fft_rtc_fwd_len3072_factors_6_4_4_4_4_2_wgs_256_tpt_256_halfLds_sp_op_CI_CI_unitstride_sbrr_C2R_dirReg
		.amdhsa_group_segment_fixed_size 0
		.amdhsa_private_segment_fixed_size 0
		.amdhsa_kernarg_size 104
		.amdhsa_user_sgpr_count 6
		.amdhsa_user_sgpr_private_segment_buffer 1
		.amdhsa_user_sgpr_dispatch_ptr 0
		.amdhsa_user_sgpr_queue_ptr 0
		.amdhsa_user_sgpr_kernarg_segment_ptr 1
		.amdhsa_user_sgpr_dispatch_id 0
		.amdhsa_user_sgpr_flat_scratch_init 0
		.amdhsa_user_sgpr_private_segment_size 0
		.amdhsa_wavefront_size32 1
		.amdhsa_uses_dynamic_stack 0
		.amdhsa_system_sgpr_private_segment_wavefront_offset 0
		.amdhsa_system_sgpr_workgroup_id_x 1
		.amdhsa_system_sgpr_workgroup_id_y 0
		.amdhsa_system_sgpr_workgroup_id_z 0
		.amdhsa_system_sgpr_workgroup_info 0
		.amdhsa_system_vgpr_workitem_id 0
		.amdhsa_next_free_vgpr 69
		.amdhsa_next_free_sgpr 27
		.amdhsa_reserve_vcc 1
		.amdhsa_reserve_flat_scratch 0
		.amdhsa_float_round_mode_32 0
		.amdhsa_float_round_mode_16_64 0
		.amdhsa_float_denorm_mode_32 3
		.amdhsa_float_denorm_mode_16_64 3
		.amdhsa_dx10_clamp 1
		.amdhsa_ieee_mode 1
		.amdhsa_fp16_overflow 0
		.amdhsa_workgroup_processor_mode 1
		.amdhsa_memory_ordered 1
		.amdhsa_forward_progress 0
		.amdhsa_shared_vgpr_count 0
		.amdhsa_exception_fp_ieee_invalid_op 0
		.amdhsa_exception_fp_denorm_src 0
		.amdhsa_exception_fp_ieee_div_zero 0
		.amdhsa_exception_fp_ieee_overflow 0
		.amdhsa_exception_fp_ieee_underflow 0
		.amdhsa_exception_fp_ieee_inexact 0
		.amdhsa_exception_int_div_zero 0
	.end_amdhsa_kernel
	.text
.Lfunc_end0:
	.size	fft_rtc_fwd_len3072_factors_6_4_4_4_4_2_wgs_256_tpt_256_halfLds_sp_op_CI_CI_unitstride_sbrr_C2R_dirReg, .Lfunc_end0-fft_rtc_fwd_len3072_factors_6_4_4_4_4_2_wgs_256_tpt_256_halfLds_sp_op_CI_CI_unitstride_sbrr_C2R_dirReg
                                        ; -- End function
	.section	.AMDGPU.csdata,"",@progbits
; Kernel info:
; codeLenInByte = 8508
; NumSgprs: 29
; NumVgprs: 69
; ScratchSize: 0
; MemoryBound: 0
; FloatMode: 240
; IeeeMode: 1
; LDSByteSize: 0 bytes/workgroup (compile time only)
; SGPRBlocks: 3
; VGPRBlocks: 8
; NumSGPRsForWavesPerEU: 29
; NumVGPRsForWavesPerEU: 69
; Occupancy: 12
; WaveLimiterHint : 1
; COMPUTE_PGM_RSRC2:SCRATCH_EN: 0
; COMPUTE_PGM_RSRC2:USER_SGPR: 6
; COMPUTE_PGM_RSRC2:TRAP_HANDLER: 0
; COMPUTE_PGM_RSRC2:TGID_X_EN: 1
; COMPUTE_PGM_RSRC2:TGID_Y_EN: 0
; COMPUTE_PGM_RSRC2:TGID_Z_EN: 0
; COMPUTE_PGM_RSRC2:TIDIG_COMP_CNT: 0
	.text
	.p2alignl 6, 3214868480
	.fill 48, 4, 3214868480
	.type	__hip_cuid_dbe158e339fb8bde,@object ; @__hip_cuid_dbe158e339fb8bde
	.section	.bss,"aw",@nobits
	.globl	__hip_cuid_dbe158e339fb8bde
__hip_cuid_dbe158e339fb8bde:
	.byte	0                               ; 0x0
	.size	__hip_cuid_dbe158e339fb8bde, 1

	.ident	"AMD clang version 19.0.0git (https://github.com/RadeonOpenCompute/llvm-project roc-6.4.0 25133 c7fe45cf4b819c5991fe208aaa96edf142730f1d)"
	.section	".note.GNU-stack","",@progbits
	.addrsig
	.addrsig_sym __hip_cuid_dbe158e339fb8bde
	.amdgpu_metadata
---
amdhsa.kernels:
  - .args:
      - .actual_access:  read_only
        .address_space:  global
        .offset:         0
        .size:           8
        .value_kind:     global_buffer
      - .offset:         8
        .size:           8
        .value_kind:     by_value
      - .actual_access:  read_only
        .address_space:  global
        .offset:         16
        .size:           8
        .value_kind:     global_buffer
      - .actual_access:  read_only
        .address_space:  global
        .offset:         24
        .size:           8
        .value_kind:     global_buffer
      - .actual_access:  read_only
        .address_space:  global
        .offset:         32
        .size:           8
        .value_kind:     global_buffer
      - .offset:         40
        .size:           8
        .value_kind:     by_value
      - .actual_access:  read_only
        .address_space:  global
        .offset:         48
        .size:           8
        .value_kind:     global_buffer
      - .actual_access:  read_only
        .address_space:  global
        .offset:         56
        .size:           8
        .value_kind:     global_buffer
      - .offset:         64
        .size:           4
        .value_kind:     by_value
      - .actual_access:  read_only
        .address_space:  global
        .offset:         72
        .size:           8
        .value_kind:     global_buffer
      - .actual_access:  read_only
        .address_space:  global
        .offset:         80
        .size:           8
        .value_kind:     global_buffer
      - .actual_access:  read_only
        .address_space:  global
        .offset:         88
        .size:           8
        .value_kind:     global_buffer
      - .actual_access:  write_only
        .address_space:  global
        .offset:         96
        .size:           8
        .value_kind:     global_buffer
    .group_segment_fixed_size: 0
    .kernarg_segment_align: 8
    .kernarg_segment_size: 104
    .language:       OpenCL C
    .language_version:
      - 2
      - 0
    .max_flat_workgroup_size: 256
    .name:           fft_rtc_fwd_len3072_factors_6_4_4_4_4_2_wgs_256_tpt_256_halfLds_sp_op_CI_CI_unitstride_sbrr_C2R_dirReg
    .private_segment_fixed_size: 0
    .sgpr_count:     29
    .sgpr_spill_count: 0
    .symbol:         fft_rtc_fwd_len3072_factors_6_4_4_4_4_2_wgs_256_tpt_256_halfLds_sp_op_CI_CI_unitstride_sbrr_C2R_dirReg.kd
    .uniform_work_group_size: 1
    .uses_dynamic_stack: false
    .vgpr_count:     69
    .vgpr_spill_count: 0
    .wavefront_size: 32
    .workgroup_processor_mode: 1
amdhsa.target:   amdgcn-amd-amdhsa--gfx1030
amdhsa.version:
  - 1
  - 2
...

	.end_amdgpu_metadata
